;; amdgpu-corpus repo=ROCm/rocSOLVER kind=compiled arch=gfx1250 opt=O3
	.amdgcn_target "amdgcn-amd-amdhsa--gfx1250"
	.amdhsa_code_object_version 6
	.section	.text._ZN9rocsolver6v33100L16rf_gather_kernelIfEEviiPKiPT_iS5_,"axG",@progbits,_ZN9rocsolver6v33100L16rf_gather_kernelIfEEviiPKiPT_iS5_,comdat
	.globl	_ZN9rocsolver6v33100L16rf_gather_kernelIfEEviiPKiPT_iS5_ ; -- Begin function _ZN9rocsolver6v33100L16rf_gather_kernelIfEEviiPKiPT_iS5_
	.p2align	8
	.type	_ZN9rocsolver6v33100L16rf_gather_kernelIfEEviiPKiPT_iS5_,@function
_ZN9rocsolver6v33100L16rf_gather_kernelIfEEviiPKiPT_iS5_: ; @_ZN9rocsolver6v33100L16rf_gather_kernelIfEEviiPKiPT_iS5_
; %bb.0:
	s_clause 0x3
	s_load_b64 s[14:15], s[0:1], 0x0
	s_load_b128 s[4:7], s[0:1], 0x8
	s_load_b32 s10, s[0:1], 0x18
	s_load_b64 s[12:13], s[0:1], 0x20
	v_mov_b32_e32 v3, 0
	s_delay_alu instid0(VALU_DEP_1)
	v_mov_b32_e32 v1, v3
	s_wait_kmcnt 0x0
	v_cmp_gt_u32_e32 vcc_lo, s14, v0
	s_ashr_i32 s9, s14, 31
	s_mov_b32 s8, s14
	s_and_saveexec_b32 s14, vcc_lo
	s_cbranch_execz .LBB0_6
; %bb.1:
	s_load_b32 s2, s[0:1], 0x34
	v_lshlrev_b32_e32 v2, 2, v0
	s_ashr_i32 s17, s15, 31
	v_mov_b64_e32 v[4:5], v[0:1]
	s_cmp_eq_u32 s15, 0
	s_mov_b32 s19, 0
	v_add_nc_u64_e32 v[6:7], s[12:13], v[2:3]
	s_cselect_b32 s26, -1, 0
	s_ashr_i32 s11, s10, 31
	s_mov_b32 s16, s15
	s_mov_b32 s21, s19
	s_lshl_b64 s[22:23], s[8:9], 2
	s_lshl_b64 s[24:25], s[10:11], 2
	s_mov_b32 s11, s19
	s_wait_kmcnt 0x0
	s_and_b32 s18, s2, 0xffff
	s_delay_alu instid0(SALU_CYCLE_1)
	s_lshl_b32 s20, s18, 2
	s_branch .LBB0_3
.LBB0_2:                                ;   in Loop: Header=BB0_3 Depth=1
	s_or_b32 exec_lo, exec_lo, s27
	v_add_nc_u64_e32 v[4:5], s[18:19], v[4:5]
	v_add_nc_u64_e32 v[6:7], s[20:21], v[6:7]
	s_delay_alu instid0(VALU_DEP_2) | instskip(SKIP_1) | instid1(SALU_CYCLE_1)
	v_cmp_le_u64_e64 s2, s[8:9], v[4:5]
	s_or_b32 s11, s2, s11
	s_and_not1_b32 exec_lo, exec_lo, s11
	s_cbranch_execz .LBB0_6
.LBB0_3:                                ; =>This Loop Header: Depth=1
                                        ;     Child Loop BB0_5 Depth 2
	v_lshl_add_u64 v[8:9], v[4:5], 2, s[4:5]
	global_load_b32 v2, v[8:9], off
	s_wait_loadcnt 0x0
	v_cmp_gt_i32_e64 s2, 0, v2
	v_cmp_le_i32_e64 s3, s8, v2
	s_or_b32 s2, s2, s3
	s_delay_alu instid0(SALU_CYCLE_1)
	s_nor_b32 s2, s2, s26
	s_wait_xcnt 0x0
	s_and_saveexec_b32 s27, s2
	s_cbranch_execz .LBB0_2
; %bb.4:                                ;   in Loop: Header=BB0_3 Depth=1
	v_mov_b64_e32 v[10:11], v[6:7]
	v_lshl_add_u64 v[8:9], v[2:3], 2, s[6:7]
	s_mov_b64 s[2:3], s[16:17]
.LBB0_5:                                ;   Parent Loop BB0_3 Depth=1
                                        ; =>  This Inner Loop Header: Depth=2
	global_load_b32 v2, v[8:9], off
	s_wait_xcnt 0x0
	v_add_nc_u64_e32 v[8:9], s[24:25], v[8:9]
	s_add_nc_u64 s[2:3], s[2:3], -1
	s_delay_alu instid0(SALU_CYCLE_1)
	s_cmp_lg_u64 s[2:3], 0
	s_wait_loadcnt 0x0
	global_store_b32 v[10:11], v2, off
	s_wait_xcnt 0x0
	v_add_nc_u64_e32 v[10:11], s[22:23], v[10:11]
	s_cbranch_scc1 .LBB0_5
	s_branch .LBB0_2
.LBB0_6:
	s_or_b32 exec_lo, exec_lo, s14
	s_wait_storecnt 0x0
	s_barrier_signal -1
	s_barrier_wait -1
	s_and_saveexec_b32 s2, vcc_lo
	s_cbranch_execz .LBB0_11
; %bb.7:
	s_load_b32 s2, s[0:1], 0x34
	v_dual_mov_b32 v5, 0 :: v_dual_lshlrev_b32 v4, 2, v0
	s_wait_xcnt 0x0
	s_ashr_i32 s1, s15, 31
	s_cmp_lg_u32 s15, 0
	s_mov_b32 s3, 0
	s_cselect_b32 s16, -1, 0
	v_add_nc_u64_e32 v[2:3], s[6:7], v[4:5]
	v_add_nc_u64_e32 v[4:5], s[12:13], v[4:5]
	s_ashr_i32 s11, s10, 31
	s_mov_b32 s0, s15
	s_mov_b32 s5, s3
	s_lshl_b64 s[14:15], s[8:9], 2
	s_lshl_b64 s[6:7], s[10:11], 2
	s_mov_b32 s12, s3
	s_wait_kmcnt 0x0
	s_and_b32 s2, s2, 0xffff
	s_delay_alu instid0(SALU_CYCLE_1)
	s_lshl_b32 s4, s2, 2
	s_branch .LBB0_9
.LBB0_8:                                ;   in Loop: Header=BB0_9 Depth=1
	v_add_nc_u64_e32 v[0:1], s[2:3], v[0:1]
	v_add_nc_u64_e32 v[2:3], s[4:5], v[2:3]
	;; [unrolled: 1-line block ×3, first 2 shown]
	s_delay_alu instid0(VALU_DEP_3) | instskip(SKIP_1) | instid1(SALU_CYCLE_1)
	v_cmp_le_u64_e32 vcc_lo, s[8:9], v[0:1]
	s_or_b32 s12, vcc_lo, s12
	s_and_not1_b32 exec_lo, exec_lo, s12
	s_cbranch_execz .LBB0_11
.LBB0_9:                                ; =>This Loop Header: Depth=1
                                        ;     Child Loop BB0_10 Depth 2
	s_delay_alu instid0(VALU_DEP_2)
	v_mov_b64_e32 v[6:7], v[4:5]
	v_mov_b64_e32 v[8:9], v[2:3]
	s_and_not1_b32 vcc_lo, exec_lo, s16
	s_mov_b64 s[10:11], s[0:1]
	s_cbranch_vccnz .LBB0_8
.LBB0_10:                               ;   Parent Loop BB0_9 Depth=1
                                        ; =>  This Inner Loop Header: Depth=2
	global_load_b32 v10, v[6:7], off
	s_wait_xcnt 0x0
	v_add_nc_u64_e32 v[6:7], s[14:15], v[6:7]
	s_add_nc_u64 s[10:11], s[10:11], -1
	s_delay_alu instid0(SALU_CYCLE_1)
	s_cmp_eq_u64 s[10:11], 0
	s_wait_loadcnt 0x0
	global_store_b32 v[8:9], v10, off
	s_wait_xcnt 0x0
	v_add_nc_u64_e32 v[8:9], s[6:7], v[8:9]
	s_cbranch_scc0 .LBB0_10
	s_branch .LBB0_8
.LBB0_11:
	s_endpgm
	.section	.rodata,"a",@progbits
	.p2align	6, 0x0
	.amdhsa_kernel _ZN9rocsolver6v33100L16rf_gather_kernelIfEEviiPKiPT_iS5_
		.amdhsa_group_segment_fixed_size 0
		.amdhsa_private_segment_fixed_size 0
		.amdhsa_kernarg_size 296
		.amdhsa_user_sgpr_count 2
		.amdhsa_user_sgpr_dispatch_ptr 0
		.amdhsa_user_sgpr_queue_ptr 0
		.amdhsa_user_sgpr_kernarg_segment_ptr 1
		.amdhsa_user_sgpr_dispatch_id 0
		.amdhsa_user_sgpr_kernarg_preload_length 0
		.amdhsa_user_sgpr_kernarg_preload_offset 0
		.amdhsa_user_sgpr_private_segment_size 0
		.amdhsa_wavefront_size32 1
		.amdhsa_uses_dynamic_stack 0
		.amdhsa_enable_private_segment 0
		.amdhsa_system_sgpr_workgroup_id_x 1
		.amdhsa_system_sgpr_workgroup_id_y 0
		.amdhsa_system_sgpr_workgroup_id_z 0
		.amdhsa_system_sgpr_workgroup_info 0
		.amdhsa_system_vgpr_workitem_id 0
		.amdhsa_next_free_vgpr 12
		.amdhsa_next_free_sgpr 28
		.amdhsa_named_barrier_count 0
		.amdhsa_reserve_vcc 1
		.amdhsa_float_round_mode_32 0
		.amdhsa_float_round_mode_16_64 0
		.amdhsa_float_denorm_mode_32 3
		.amdhsa_float_denorm_mode_16_64 3
		.amdhsa_fp16_overflow 0
		.amdhsa_memory_ordered 1
		.amdhsa_forward_progress 1
		.amdhsa_inst_pref_size 5
		.amdhsa_round_robin_scheduling 0
		.amdhsa_exception_fp_ieee_invalid_op 0
		.amdhsa_exception_fp_denorm_src 0
		.amdhsa_exception_fp_ieee_div_zero 0
		.amdhsa_exception_fp_ieee_overflow 0
		.amdhsa_exception_fp_ieee_underflow 0
		.amdhsa_exception_fp_ieee_inexact 0
		.amdhsa_exception_int_div_zero 0
	.end_amdhsa_kernel
	.section	.text._ZN9rocsolver6v33100L16rf_gather_kernelIfEEviiPKiPT_iS5_,"axG",@progbits,_ZN9rocsolver6v33100L16rf_gather_kernelIfEEviiPKiPT_iS5_,comdat
.Lfunc_end0:
	.size	_ZN9rocsolver6v33100L16rf_gather_kernelIfEEviiPKiPT_iS5_, .Lfunc_end0-_ZN9rocsolver6v33100L16rf_gather_kernelIfEEviiPKiPT_iS5_
                                        ; -- End function
	.set _ZN9rocsolver6v33100L16rf_gather_kernelIfEEviiPKiPT_iS5_.num_vgpr, 12
	.set _ZN9rocsolver6v33100L16rf_gather_kernelIfEEviiPKiPT_iS5_.num_agpr, 0
	.set _ZN9rocsolver6v33100L16rf_gather_kernelIfEEviiPKiPT_iS5_.numbered_sgpr, 28
	.set _ZN9rocsolver6v33100L16rf_gather_kernelIfEEviiPKiPT_iS5_.num_named_barrier, 0
	.set _ZN9rocsolver6v33100L16rf_gather_kernelIfEEviiPKiPT_iS5_.private_seg_size, 0
	.set _ZN9rocsolver6v33100L16rf_gather_kernelIfEEviiPKiPT_iS5_.uses_vcc, 1
	.set _ZN9rocsolver6v33100L16rf_gather_kernelIfEEviiPKiPT_iS5_.uses_flat_scratch, 0
	.set _ZN9rocsolver6v33100L16rf_gather_kernelIfEEviiPKiPT_iS5_.has_dyn_sized_stack, 0
	.set _ZN9rocsolver6v33100L16rf_gather_kernelIfEEviiPKiPT_iS5_.has_recursion, 0
	.set _ZN9rocsolver6v33100L16rf_gather_kernelIfEEviiPKiPT_iS5_.has_indirect_call, 0
	.section	.AMDGPU.csdata,"",@progbits
; Kernel info:
; codeLenInByte = 576
; TotalNumSgprs: 30
; NumVgprs: 12
; ScratchSize: 0
; MemoryBound: 0
; FloatMode: 240
; IeeeMode: 1
; LDSByteSize: 0 bytes/workgroup (compile time only)
; SGPRBlocks: 0
; VGPRBlocks: 0
; NumSGPRsForWavesPerEU: 30
; NumVGPRsForWavesPerEU: 12
; NamedBarCnt: 0
; Occupancy: 16
; WaveLimiterHint : 0
; COMPUTE_PGM_RSRC2:SCRATCH_EN: 0
; COMPUTE_PGM_RSRC2:USER_SGPR: 2
; COMPUTE_PGM_RSRC2:TRAP_HANDLER: 0
; COMPUTE_PGM_RSRC2:TGID_X_EN: 1
; COMPUTE_PGM_RSRC2:TGID_Y_EN: 0
; COMPUTE_PGM_RSRC2:TGID_Z_EN: 0
; COMPUTE_PGM_RSRC2:TIDIG_COMP_CNT: 0
	.section	.text._ZN9rocsolver6v33100L17rf_scatter_kernelIfEEviiPKiPT_iS5_,"axG",@progbits,_ZN9rocsolver6v33100L17rf_scatter_kernelIfEEviiPKiPT_iS5_,comdat
	.globl	_ZN9rocsolver6v33100L17rf_scatter_kernelIfEEviiPKiPT_iS5_ ; -- Begin function _ZN9rocsolver6v33100L17rf_scatter_kernelIfEEviiPKiPT_iS5_
	.p2align	8
	.type	_ZN9rocsolver6v33100L17rf_scatter_kernelIfEEviiPKiPT_iS5_,@function
_ZN9rocsolver6v33100L17rf_scatter_kernelIfEEviiPKiPT_iS5_: ; @_ZN9rocsolver6v33100L17rf_scatter_kernelIfEEviiPKiPT_iS5_
; %bb.0:
	s_clause 0x3
	s_load_b64 s[14:15], s[0:1], 0x0
	s_load_b128 s[4:7], s[0:1], 0x8
	s_load_b32 s10, s[0:1], 0x18
	s_load_b64 s[12:13], s[0:1], 0x20
	v_mov_b32_e32 v3, 0
	s_delay_alu instid0(VALU_DEP_1)
	v_mov_b32_e32 v1, v3
	s_wait_kmcnt 0x0
	v_cmp_gt_u32_e32 vcc_lo, s14, v0
	s_ashr_i32 s9, s14, 31
	s_mov_b32 s8, s14
	s_and_saveexec_b32 s14, vcc_lo
	s_cbranch_execz .LBB1_6
; %bb.1:
	s_load_b32 s2, s[0:1], 0x34
	v_lshlrev_b32_e32 v2, 2, v0
	s_ashr_i32 s17, s15, 31
	v_mov_b64_e32 v[4:5], v[0:1]
	s_cmp_eq_u32 s15, 0
	s_mov_b32 s19, 0
	v_add_nc_u64_e32 v[6:7], s[6:7], v[2:3]
	s_cselect_b32 s26, -1, 0
	s_ashr_i32 s11, s10, 31
	s_mov_b32 s16, s15
	s_mov_b32 s21, s19
	s_lshl_b64 s[22:23], s[8:9], 2
	s_lshl_b64 s[24:25], s[10:11], 2
	s_mov_b32 s11, s19
	s_wait_kmcnt 0x0
	s_and_b32 s18, s2, 0xffff
	s_delay_alu instid0(SALU_CYCLE_1)
	s_lshl_b32 s20, s18, 2
	s_branch .LBB1_3
.LBB1_2:                                ;   in Loop: Header=BB1_3 Depth=1
	s_or_b32 exec_lo, exec_lo, s27
	v_add_nc_u64_e32 v[4:5], s[18:19], v[4:5]
	v_add_nc_u64_e32 v[6:7], s[20:21], v[6:7]
	s_delay_alu instid0(VALU_DEP_2) | instskip(SKIP_1) | instid1(SALU_CYCLE_1)
	v_cmp_le_u64_e64 s2, s[8:9], v[4:5]
	s_or_b32 s11, s2, s11
	s_and_not1_b32 exec_lo, exec_lo, s11
	s_cbranch_execz .LBB1_6
.LBB1_3:                                ; =>This Loop Header: Depth=1
                                        ;     Child Loop BB1_5 Depth 2
	v_lshl_add_u64 v[8:9], v[4:5], 2, s[4:5]
	global_load_b32 v2, v[8:9], off
	s_wait_loadcnt 0x0
	v_cmp_gt_i32_e64 s2, 0, v2
	v_cmp_le_i32_e64 s3, s8, v2
	s_or_b32 s2, s2, s3
	s_delay_alu instid0(SALU_CYCLE_1)
	s_nor_b32 s2, s2, s26
	s_wait_xcnt 0x0
	s_and_saveexec_b32 s27, s2
	s_cbranch_execz .LBB1_2
; %bb.4:                                ;   in Loop: Header=BB1_3 Depth=1
	v_mov_b64_e32 v[10:11], v[6:7]
	v_lshl_add_u64 v[8:9], v[2:3], 2, s[12:13]
	s_mov_b64 s[2:3], s[16:17]
.LBB1_5:                                ;   Parent Loop BB1_3 Depth=1
                                        ; =>  This Inner Loop Header: Depth=2
	global_load_b32 v2, v[10:11], off
	s_wait_xcnt 0x0
	v_add_nc_u64_e32 v[10:11], s[24:25], v[10:11]
	s_add_nc_u64 s[2:3], s[2:3], -1
	s_delay_alu instid0(SALU_CYCLE_1)
	s_cmp_lg_u64 s[2:3], 0
	s_wait_loadcnt 0x0
	global_store_b32 v[8:9], v2, off
	s_wait_xcnt 0x0
	v_add_nc_u64_e32 v[8:9], s[22:23], v[8:9]
	s_cbranch_scc1 .LBB1_5
	s_branch .LBB1_2
.LBB1_6:
	s_or_b32 exec_lo, exec_lo, s14
	s_wait_storecnt 0x0
	s_barrier_signal -1
	s_barrier_wait -1
	s_and_saveexec_b32 s2, vcc_lo
	s_cbranch_execz .LBB1_11
; %bb.7:
	s_load_b32 s2, s[0:1], 0x34
	v_dual_mov_b32 v5, 0 :: v_dual_lshlrev_b32 v4, 2, v0
	s_wait_xcnt 0x0
	s_ashr_i32 s1, s15, 31
	s_cmp_lg_u32 s15, 0
	s_mov_b32 s3, 0
	s_cselect_b32 s16, -1, 0
	v_add_nc_u64_e32 v[2:3], s[6:7], v[4:5]
	v_add_nc_u64_e32 v[4:5], s[12:13], v[4:5]
	s_ashr_i32 s11, s10, 31
	s_mov_b32 s0, s15
	s_mov_b32 s5, s3
	s_lshl_b64 s[14:15], s[8:9], 2
	s_lshl_b64 s[6:7], s[10:11], 2
	s_mov_b32 s12, s3
	s_wait_kmcnt 0x0
	s_and_b32 s2, s2, 0xffff
	s_delay_alu instid0(SALU_CYCLE_1)
	s_lshl_b32 s4, s2, 2
	s_branch .LBB1_9
.LBB1_8:                                ;   in Loop: Header=BB1_9 Depth=1
	v_add_nc_u64_e32 v[0:1], s[2:3], v[0:1]
	v_add_nc_u64_e32 v[2:3], s[4:5], v[2:3]
	;; [unrolled: 1-line block ×3, first 2 shown]
	s_delay_alu instid0(VALU_DEP_3) | instskip(SKIP_1) | instid1(SALU_CYCLE_1)
	v_cmp_le_u64_e32 vcc_lo, s[8:9], v[0:1]
	s_or_b32 s12, vcc_lo, s12
	s_and_not1_b32 exec_lo, exec_lo, s12
	s_cbranch_execz .LBB1_11
.LBB1_9:                                ; =>This Loop Header: Depth=1
                                        ;     Child Loop BB1_10 Depth 2
	s_delay_alu instid0(VALU_DEP_2)
	v_mov_b64_e32 v[6:7], v[4:5]
	v_mov_b64_e32 v[8:9], v[2:3]
	s_and_not1_b32 vcc_lo, exec_lo, s16
	s_mov_b64 s[10:11], s[0:1]
	s_cbranch_vccnz .LBB1_8
.LBB1_10:                               ;   Parent Loop BB1_9 Depth=1
                                        ; =>  This Inner Loop Header: Depth=2
	global_load_b32 v10, v[6:7], off
	s_wait_xcnt 0x0
	v_add_nc_u64_e32 v[6:7], s[14:15], v[6:7]
	s_add_nc_u64 s[10:11], s[10:11], -1
	s_delay_alu instid0(SALU_CYCLE_1)
	s_cmp_eq_u64 s[10:11], 0
	s_wait_loadcnt 0x0
	global_store_b32 v[8:9], v10, off
	s_wait_xcnt 0x0
	v_add_nc_u64_e32 v[8:9], s[6:7], v[8:9]
	s_cbranch_scc0 .LBB1_10
	s_branch .LBB1_8
.LBB1_11:
	s_endpgm
	.section	.rodata,"a",@progbits
	.p2align	6, 0x0
	.amdhsa_kernel _ZN9rocsolver6v33100L17rf_scatter_kernelIfEEviiPKiPT_iS5_
		.amdhsa_group_segment_fixed_size 0
		.amdhsa_private_segment_fixed_size 0
		.amdhsa_kernarg_size 296
		.amdhsa_user_sgpr_count 2
		.amdhsa_user_sgpr_dispatch_ptr 0
		.amdhsa_user_sgpr_queue_ptr 0
		.amdhsa_user_sgpr_kernarg_segment_ptr 1
		.amdhsa_user_sgpr_dispatch_id 0
		.amdhsa_user_sgpr_kernarg_preload_length 0
		.amdhsa_user_sgpr_kernarg_preload_offset 0
		.amdhsa_user_sgpr_private_segment_size 0
		.amdhsa_wavefront_size32 1
		.amdhsa_uses_dynamic_stack 0
		.amdhsa_enable_private_segment 0
		.amdhsa_system_sgpr_workgroup_id_x 1
		.amdhsa_system_sgpr_workgroup_id_y 0
		.amdhsa_system_sgpr_workgroup_id_z 0
		.amdhsa_system_sgpr_workgroup_info 0
		.amdhsa_system_vgpr_workitem_id 0
		.amdhsa_next_free_vgpr 12
		.amdhsa_next_free_sgpr 28
		.amdhsa_named_barrier_count 0
		.amdhsa_reserve_vcc 1
		.amdhsa_float_round_mode_32 0
		.amdhsa_float_round_mode_16_64 0
		.amdhsa_float_denorm_mode_32 3
		.amdhsa_float_denorm_mode_16_64 3
		.amdhsa_fp16_overflow 0
		.amdhsa_memory_ordered 1
		.amdhsa_forward_progress 1
		.amdhsa_inst_pref_size 5
		.amdhsa_round_robin_scheduling 0
		.amdhsa_exception_fp_ieee_invalid_op 0
		.amdhsa_exception_fp_denorm_src 0
		.amdhsa_exception_fp_ieee_div_zero 0
		.amdhsa_exception_fp_ieee_overflow 0
		.amdhsa_exception_fp_ieee_underflow 0
		.amdhsa_exception_fp_ieee_inexact 0
		.amdhsa_exception_int_div_zero 0
	.end_amdhsa_kernel
	.section	.text._ZN9rocsolver6v33100L17rf_scatter_kernelIfEEviiPKiPT_iS5_,"axG",@progbits,_ZN9rocsolver6v33100L17rf_scatter_kernelIfEEviiPKiPT_iS5_,comdat
.Lfunc_end1:
	.size	_ZN9rocsolver6v33100L17rf_scatter_kernelIfEEviiPKiPT_iS5_, .Lfunc_end1-_ZN9rocsolver6v33100L17rf_scatter_kernelIfEEviiPKiPT_iS5_
                                        ; -- End function
	.set _ZN9rocsolver6v33100L17rf_scatter_kernelIfEEviiPKiPT_iS5_.num_vgpr, 12
	.set _ZN9rocsolver6v33100L17rf_scatter_kernelIfEEviiPKiPT_iS5_.num_agpr, 0
	.set _ZN9rocsolver6v33100L17rf_scatter_kernelIfEEviiPKiPT_iS5_.numbered_sgpr, 28
	.set _ZN9rocsolver6v33100L17rf_scatter_kernelIfEEviiPKiPT_iS5_.num_named_barrier, 0
	.set _ZN9rocsolver6v33100L17rf_scatter_kernelIfEEviiPKiPT_iS5_.private_seg_size, 0
	.set _ZN9rocsolver6v33100L17rf_scatter_kernelIfEEviiPKiPT_iS5_.uses_vcc, 1
	.set _ZN9rocsolver6v33100L17rf_scatter_kernelIfEEviiPKiPT_iS5_.uses_flat_scratch, 0
	.set _ZN9rocsolver6v33100L17rf_scatter_kernelIfEEviiPKiPT_iS5_.has_dyn_sized_stack, 0
	.set _ZN9rocsolver6v33100L17rf_scatter_kernelIfEEviiPKiPT_iS5_.has_recursion, 0
	.set _ZN9rocsolver6v33100L17rf_scatter_kernelIfEEviiPKiPT_iS5_.has_indirect_call, 0
	.section	.AMDGPU.csdata,"",@progbits
; Kernel info:
; codeLenInByte = 576
; TotalNumSgprs: 30
; NumVgprs: 12
; ScratchSize: 0
; MemoryBound: 0
; FloatMode: 240
; IeeeMode: 1
; LDSByteSize: 0 bytes/workgroup (compile time only)
; SGPRBlocks: 0
; VGPRBlocks: 0
; NumSGPRsForWavesPerEU: 30
; NumVGPRsForWavesPerEU: 12
; NamedBarCnt: 0
; Occupancy: 16
; WaveLimiterHint : 0
; COMPUTE_PGM_RSRC2:SCRATCH_EN: 0
; COMPUTE_PGM_RSRC2:USER_SGPR: 2
; COMPUTE_PGM_RSRC2:TRAP_HANDLER: 0
; COMPUTE_PGM_RSRC2:TGID_X_EN: 1
; COMPUTE_PGM_RSRC2:TGID_Y_EN: 0
; COMPUTE_PGM_RSRC2:TGID_Z_EN: 0
; COMPUTE_PGM_RSRC2:TIDIG_COMP_CNT: 0
	.section	.text._ZN9rocsolver6v33100L16rf_gather_kernelIdEEviiPKiPT_iS5_,"axG",@progbits,_ZN9rocsolver6v33100L16rf_gather_kernelIdEEviiPKiPT_iS5_,comdat
	.globl	_ZN9rocsolver6v33100L16rf_gather_kernelIdEEviiPKiPT_iS5_ ; -- Begin function _ZN9rocsolver6v33100L16rf_gather_kernelIdEEviiPKiPT_iS5_
	.p2align	8
	.type	_ZN9rocsolver6v33100L16rf_gather_kernelIdEEviiPKiPT_iS5_,@function
_ZN9rocsolver6v33100L16rf_gather_kernelIdEEviiPKiPT_iS5_: ; @_ZN9rocsolver6v33100L16rf_gather_kernelIdEEviiPKiPT_iS5_
; %bb.0:
	s_clause 0x3
	s_load_b64 s[14:15], s[0:1], 0x0
	s_load_b128 s[4:7], s[0:1], 0x8
	s_load_b32 s10, s[0:1], 0x18
	s_load_b64 s[12:13], s[0:1], 0x20
	v_mov_b32_e32 v3, 0
	s_delay_alu instid0(VALU_DEP_1)
	v_mov_b32_e32 v1, v3
	s_wait_kmcnt 0x0
	v_cmp_gt_u32_e32 vcc_lo, s14, v0
	s_ashr_i32 s9, s14, 31
	s_mov_b32 s8, s14
	s_and_saveexec_b32 s14, vcc_lo
	s_cbranch_execz .LBB2_6
; %bb.1:
	s_load_b32 s2, s[0:1], 0x34
	v_lshlrev_b32_e32 v2, 3, v0
	s_ashr_i32 s17, s15, 31
	v_mov_b64_e32 v[4:5], v[0:1]
	s_cmp_eq_u32 s15, 0
	s_mov_b32 s19, 0
	v_add_nc_u64_e32 v[6:7], s[12:13], v[2:3]
	s_cselect_b32 s26, -1, 0
	s_ashr_i32 s11, s10, 31
	s_mov_b32 s16, s15
	s_mov_b32 s21, s19
	s_lshl_b64 s[22:23], s[8:9], 3
	s_lshl_b64 s[24:25], s[10:11], 3
	s_mov_b32 s11, s19
	s_wait_kmcnt 0x0
	s_and_b32 s18, s2, 0xffff
	s_delay_alu instid0(SALU_CYCLE_1)
	s_lshl_b32 s20, s18, 3
	s_branch .LBB2_3
.LBB2_2:                                ;   in Loop: Header=BB2_3 Depth=1
	s_or_b32 exec_lo, exec_lo, s27
	v_add_nc_u64_e32 v[4:5], s[18:19], v[4:5]
	v_add_nc_u64_e32 v[6:7], s[20:21], v[6:7]
	s_delay_alu instid0(VALU_DEP_2) | instskip(SKIP_1) | instid1(SALU_CYCLE_1)
	v_cmp_le_u64_e64 s2, s[8:9], v[4:5]
	s_or_b32 s11, s2, s11
	s_and_not1_b32 exec_lo, exec_lo, s11
	s_cbranch_execz .LBB2_6
.LBB2_3:                                ; =>This Loop Header: Depth=1
                                        ;     Child Loop BB2_5 Depth 2
	v_lshl_add_u64 v[8:9], v[4:5], 2, s[4:5]
	global_load_b32 v2, v[8:9], off
	s_wait_loadcnt 0x0
	v_cmp_gt_i32_e64 s2, 0, v2
	v_cmp_le_i32_e64 s3, s8, v2
	s_or_b32 s2, s2, s3
	s_delay_alu instid0(SALU_CYCLE_1)
	s_nor_b32 s2, s2, s26
	s_wait_xcnt 0x0
	s_and_saveexec_b32 s27, s2
	s_cbranch_execz .LBB2_2
; %bb.4:                                ;   in Loop: Header=BB2_3 Depth=1
	v_mov_b64_e32 v[10:11], v[6:7]
	v_lshl_add_u64 v[8:9], v[2:3], 3, s[6:7]
	s_mov_b64 s[2:3], s[16:17]
.LBB2_5:                                ;   Parent Loop BB2_3 Depth=1
                                        ; =>  This Inner Loop Header: Depth=2
	global_load_b64 v[12:13], v[8:9], off
	s_wait_xcnt 0x0
	v_add_nc_u64_e32 v[8:9], s[24:25], v[8:9]
	s_add_nc_u64 s[2:3], s[2:3], -1
	s_delay_alu instid0(SALU_CYCLE_1)
	s_cmp_lg_u64 s[2:3], 0
	s_wait_loadcnt 0x0
	global_store_b64 v[10:11], v[12:13], off
	s_wait_xcnt 0x0
	v_add_nc_u64_e32 v[10:11], s[22:23], v[10:11]
	s_cbranch_scc1 .LBB2_5
	s_branch .LBB2_2
.LBB2_6:
	s_or_b32 exec_lo, exec_lo, s14
	s_wait_storecnt 0x0
	s_barrier_signal -1
	s_barrier_wait -1
	s_and_saveexec_b32 s2, vcc_lo
	s_cbranch_execz .LBB2_11
; %bb.7:
	s_load_b32 s2, s[0:1], 0x34
	v_dual_mov_b32 v5, 0 :: v_dual_lshlrev_b32 v4, 3, v0
	s_wait_xcnt 0x0
	s_ashr_i32 s1, s15, 31
	s_cmp_lg_u32 s15, 0
	s_mov_b32 s3, 0
	s_cselect_b32 s16, -1, 0
	v_add_nc_u64_e32 v[2:3], s[6:7], v[4:5]
	v_add_nc_u64_e32 v[4:5], s[12:13], v[4:5]
	s_ashr_i32 s11, s10, 31
	s_mov_b32 s0, s15
	s_mov_b32 s5, s3
	s_lshl_b64 s[14:15], s[8:9], 3
	s_lshl_b64 s[6:7], s[10:11], 3
	s_mov_b32 s12, s3
	s_wait_kmcnt 0x0
	s_and_b32 s2, s2, 0xffff
	s_delay_alu instid0(SALU_CYCLE_1)
	s_lshl_b32 s4, s2, 3
	s_branch .LBB2_9
.LBB2_8:                                ;   in Loop: Header=BB2_9 Depth=1
	v_add_nc_u64_e32 v[0:1], s[2:3], v[0:1]
	v_add_nc_u64_e32 v[2:3], s[4:5], v[2:3]
	;; [unrolled: 1-line block ×3, first 2 shown]
	s_delay_alu instid0(VALU_DEP_3) | instskip(SKIP_1) | instid1(SALU_CYCLE_1)
	v_cmp_le_u64_e32 vcc_lo, s[8:9], v[0:1]
	s_or_b32 s12, vcc_lo, s12
	s_and_not1_b32 exec_lo, exec_lo, s12
	s_cbranch_execz .LBB2_11
.LBB2_9:                                ; =>This Loop Header: Depth=1
                                        ;     Child Loop BB2_10 Depth 2
	s_delay_alu instid0(VALU_DEP_2)
	v_mov_b64_e32 v[6:7], v[4:5]
	v_mov_b64_e32 v[8:9], v[2:3]
	s_and_not1_b32 vcc_lo, exec_lo, s16
	s_mov_b64 s[10:11], s[0:1]
	s_cbranch_vccnz .LBB2_8
.LBB2_10:                               ;   Parent Loop BB2_9 Depth=1
                                        ; =>  This Inner Loop Header: Depth=2
	global_load_b64 v[10:11], v[6:7], off
	s_wait_xcnt 0x0
	v_add_nc_u64_e32 v[6:7], s[14:15], v[6:7]
	s_add_nc_u64 s[10:11], s[10:11], -1
	s_delay_alu instid0(SALU_CYCLE_1)
	s_cmp_eq_u64 s[10:11], 0
	s_wait_loadcnt 0x0
	global_store_b64 v[8:9], v[10:11], off
	s_wait_xcnt 0x0
	v_add_nc_u64_e32 v[8:9], s[6:7], v[8:9]
	s_cbranch_scc0 .LBB2_10
	s_branch .LBB2_8
.LBB2_11:
	s_endpgm
	.section	.rodata,"a",@progbits
	.p2align	6, 0x0
	.amdhsa_kernel _ZN9rocsolver6v33100L16rf_gather_kernelIdEEviiPKiPT_iS5_
		.amdhsa_group_segment_fixed_size 0
		.amdhsa_private_segment_fixed_size 0
		.amdhsa_kernarg_size 296
		.amdhsa_user_sgpr_count 2
		.amdhsa_user_sgpr_dispatch_ptr 0
		.amdhsa_user_sgpr_queue_ptr 0
		.amdhsa_user_sgpr_kernarg_segment_ptr 1
		.amdhsa_user_sgpr_dispatch_id 0
		.amdhsa_user_sgpr_kernarg_preload_length 0
		.amdhsa_user_sgpr_kernarg_preload_offset 0
		.amdhsa_user_sgpr_private_segment_size 0
		.amdhsa_wavefront_size32 1
		.amdhsa_uses_dynamic_stack 0
		.amdhsa_enable_private_segment 0
		.amdhsa_system_sgpr_workgroup_id_x 1
		.amdhsa_system_sgpr_workgroup_id_y 0
		.amdhsa_system_sgpr_workgroup_id_z 0
		.amdhsa_system_sgpr_workgroup_info 0
		.amdhsa_system_vgpr_workitem_id 0
		.amdhsa_next_free_vgpr 14
		.amdhsa_next_free_sgpr 28
		.amdhsa_named_barrier_count 0
		.amdhsa_reserve_vcc 1
		.amdhsa_float_round_mode_32 0
		.amdhsa_float_round_mode_16_64 0
		.amdhsa_float_denorm_mode_32 3
		.amdhsa_float_denorm_mode_16_64 3
		.amdhsa_fp16_overflow 0
		.amdhsa_memory_ordered 1
		.amdhsa_forward_progress 1
		.amdhsa_inst_pref_size 5
		.amdhsa_round_robin_scheduling 0
		.amdhsa_exception_fp_ieee_invalid_op 0
		.amdhsa_exception_fp_denorm_src 0
		.amdhsa_exception_fp_ieee_div_zero 0
		.amdhsa_exception_fp_ieee_overflow 0
		.amdhsa_exception_fp_ieee_underflow 0
		.amdhsa_exception_fp_ieee_inexact 0
		.amdhsa_exception_int_div_zero 0
	.end_amdhsa_kernel
	.section	.text._ZN9rocsolver6v33100L16rf_gather_kernelIdEEviiPKiPT_iS5_,"axG",@progbits,_ZN9rocsolver6v33100L16rf_gather_kernelIdEEviiPKiPT_iS5_,comdat
.Lfunc_end2:
	.size	_ZN9rocsolver6v33100L16rf_gather_kernelIdEEviiPKiPT_iS5_, .Lfunc_end2-_ZN9rocsolver6v33100L16rf_gather_kernelIdEEviiPKiPT_iS5_
                                        ; -- End function
	.set _ZN9rocsolver6v33100L16rf_gather_kernelIdEEviiPKiPT_iS5_.num_vgpr, 14
	.set _ZN9rocsolver6v33100L16rf_gather_kernelIdEEviiPKiPT_iS5_.num_agpr, 0
	.set _ZN9rocsolver6v33100L16rf_gather_kernelIdEEviiPKiPT_iS5_.numbered_sgpr, 28
	.set _ZN9rocsolver6v33100L16rf_gather_kernelIdEEviiPKiPT_iS5_.num_named_barrier, 0
	.set _ZN9rocsolver6v33100L16rf_gather_kernelIdEEviiPKiPT_iS5_.private_seg_size, 0
	.set _ZN9rocsolver6v33100L16rf_gather_kernelIdEEviiPKiPT_iS5_.uses_vcc, 1
	.set _ZN9rocsolver6v33100L16rf_gather_kernelIdEEviiPKiPT_iS5_.uses_flat_scratch, 0
	.set _ZN9rocsolver6v33100L16rf_gather_kernelIdEEviiPKiPT_iS5_.has_dyn_sized_stack, 0
	.set _ZN9rocsolver6v33100L16rf_gather_kernelIdEEviiPKiPT_iS5_.has_recursion, 0
	.set _ZN9rocsolver6v33100L16rf_gather_kernelIdEEviiPKiPT_iS5_.has_indirect_call, 0
	.section	.AMDGPU.csdata,"",@progbits
; Kernel info:
; codeLenInByte = 576
; TotalNumSgprs: 30
; NumVgprs: 14
; ScratchSize: 0
; MemoryBound: 0
; FloatMode: 240
; IeeeMode: 1
; LDSByteSize: 0 bytes/workgroup (compile time only)
; SGPRBlocks: 0
; VGPRBlocks: 0
; NumSGPRsForWavesPerEU: 30
; NumVGPRsForWavesPerEU: 14
; NamedBarCnt: 0
; Occupancy: 16
; WaveLimiterHint : 0
; COMPUTE_PGM_RSRC2:SCRATCH_EN: 0
; COMPUTE_PGM_RSRC2:USER_SGPR: 2
; COMPUTE_PGM_RSRC2:TRAP_HANDLER: 0
; COMPUTE_PGM_RSRC2:TGID_X_EN: 1
; COMPUTE_PGM_RSRC2:TGID_Y_EN: 0
; COMPUTE_PGM_RSRC2:TGID_Z_EN: 0
; COMPUTE_PGM_RSRC2:TIDIG_COMP_CNT: 0
	.section	.text._ZN9rocsolver6v33100L17rf_scatter_kernelIdEEviiPKiPT_iS5_,"axG",@progbits,_ZN9rocsolver6v33100L17rf_scatter_kernelIdEEviiPKiPT_iS5_,comdat
	.globl	_ZN9rocsolver6v33100L17rf_scatter_kernelIdEEviiPKiPT_iS5_ ; -- Begin function _ZN9rocsolver6v33100L17rf_scatter_kernelIdEEviiPKiPT_iS5_
	.p2align	8
	.type	_ZN9rocsolver6v33100L17rf_scatter_kernelIdEEviiPKiPT_iS5_,@function
_ZN9rocsolver6v33100L17rf_scatter_kernelIdEEviiPKiPT_iS5_: ; @_ZN9rocsolver6v33100L17rf_scatter_kernelIdEEviiPKiPT_iS5_
; %bb.0:
	s_clause 0x3
	s_load_b64 s[14:15], s[0:1], 0x0
	s_load_b128 s[4:7], s[0:1], 0x8
	s_load_b32 s10, s[0:1], 0x18
	s_load_b64 s[12:13], s[0:1], 0x20
	v_mov_b32_e32 v3, 0
	s_delay_alu instid0(VALU_DEP_1)
	v_mov_b32_e32 v1, v3
	s_wait_kmcnt 0x0
	v_cmp_gt_u32_e32 vcc_lo, s14, v0
	s_ashr_i32 s9, s14, 31
	s_mov_b32 s8, s14
	s_and_saveexec_b32 s14, vcc_lo
	s_cbranch_execz .LBB3_6
; %bb.1:
	s_load_b32 s2, s[0:1], 0x34
	v_lshlrev_b32_e32 v2, 3, v0
	s_ashr_i32 s17, s15, 31
	v_mov_b64_e32 v[4:5], v[0:1]
	s_cmp_eq_u32 s15, 0
	s_mov_b32 s19, 0
	v_add_nc_u64_e32 v[6:7], s[6:7], v[2:3]
	s_cselect_b32 s26, -1, 0
	s_ashr_i32 s11, s10, 31
	s_mov_b32 s16, s15
	s_mov_b32 s21, s19
	s_lshl_b64 s[22:23], s[8:9], 3
	s_lshl_b64 s[24:25], s[10:11], 3
	s_mov_b32 s11, s19
	s_wait_kmcnt 0x0
	s_and_b32 s18, s2, 0xffff
	s_delay_alu instid0(SALU_CYCLE_1)
	s_lshl_b32 s20, s18, 3
	s_branch .LBB3_3
.LBB3_2:                                ;   in Loop: Header=BB3_3 Depth=1
	s_or_b32 exec_lo, exec_lo, s27
	v_add_nc_u64_e32 v[4:5], s[18:19], v[4:5]
	v_add_nc_u64_e32 v[6:7], s[20:21], v[6:7]
	s_delay_alu instid0(VALU_DEP_2) | instskip(SKIP_1) | instid1(SALU_CYCLE_1)
	v_cmp_le_u64_e64 s2, s[8:9], v[4:5]
	s_or_b32 s11, s2, s11
	s_and_not1_b32 exec_lo, exec_lo, s11
	s_cbranch_execz .LBB3_6
.LBB3_3:                                ; =>This Loop Header: Depth=1
                                        ;     Child Loop BB3_5 Depth 2
	v_lshl_add_u64 v[8:9], v[4:5], 2, s[4:5]
	global_load_b32 v2, v[8:9], off
	s_wait_loadcnt 0x0
	v_cmp_gt_i32_e64 s2, 0, v2
	v_cmp_le_i32_e64 s3, s8, v2
	s_or_b32 s2, s2, s3
	s_delay_alu instid0(SALU_CYCLE_1)
	s_nor_b32 s2, s2, s26
	s_wait_xcnt 0x0
	s_and_saveexec_b32 s27, s2
	s_cbranch_execz .LBB3_2
; %bb.4:                                ;   in Loop: Header=BB3_3 Depth=1
	v_mov_b64_e32 v[10:11], v[6:7]
	v_lshl_add_u64 v[8:9], v[2:3], 3, s[12:13]
	s_mov_b64 s[2:3], s[16:17]
.LBB3_5:                                ;   Parent Loop BB3_3 Depth=1
                                        ; =>  This Inner Loop Header: Depth=2
	global_load_b64 v[12:13], v[10:11], off
	s_wait_xcnt 0x0
	v_add_nc_u64_e32 v[10:11], s[24:25], v[10:11]
	s_add_nc_u64 s[2:3], s[2:3], -1
	s_delay_alu instid0(SALU_CYCLE_1)
	s_cmp_lg_u64 s[2:3], 0
	s_wait_loadcnt 0x0
	global_store_b64 v[8:9], v[12:13], off
	s_wait_xcnt 0x0
	v_add_nc_u64_e32 v[8:9], s[22:23], v[8:9]
	s_cbranch_scc1 .LBB3_5
	s_branch .LBB3_2
.LBB3_6:
	s_or_b32 exec_lo, exec_lo, s14
	s_wait_storecnt 0x0
	s_barrier_signal -1
	s_barrier_wait -1
	s_and_saveexec_b32 s2, vcc_lo
	s_cbranch_execz .LBB3_11
; %bb.7:
	s_load_b32 s2, s[0:1], 0x34
	v_dual_mov_b32 v5, 0 :: v_dual_lshlrev_b32 v4, 3, v0
	s_wait_xcnt 0x0
	s_ashr_i32 s1, s15, 31
	s_cmp_lg_u32 s15, 0
	s_mov_b32 s3, 0
	s_cselect_b32 s16, -1, 0
	v_add_nc_u64_e32 v[2:3], s[6:7], v[4:5]
	v_add_nc_u64_e32 v[4:5], s[12:13], v[4:5]
	s_ashr_i32 s11, s10, 31
	s_mov_b32 s0, s15
	s_mov_b32 s5, s3
	s_lshl_b64 s[14:15], s[8:9], 3
	s_lshl_b64 s[6:7], s[10:11], 3
	s_mov_b32 s12, s3
	s_wait_kmcnt 0x0
	s_and_b32 s2, s2, 0xffff
	s_delay_alu instid0(SALU_CYCLE_1)
	s_lshl_b32 s4, s2, 3
	s_branch .LBB3_9
.LBB3_8:                                ;   in Loop: Header=BB3_9 Depth=1
	v_add_nc_u64_e32 v[0:1], s[2:3], v[0:1]
	v_add_nc_u64_e32 v[2:3], s[4:5], v[2:3]
	;; [unrolled: 1-line block ×3, first 2 shown]
	s_delay_alu instid0(VALU_DEP_3) | instskip(SKIP_1) | instid1(SALU_CYCLE_1)
	v_cmp_le_u64_e32 vcc_lo, s[8:9], v[0:1]
	s_or_b32 s12, vcc_lo, s12
	s_and_not1_b32 exec_lo, exec_lo, s12
	s_cbranch_execz .LBB3_11
.LBB3_9:                                ; =>This Loop Header: Depth=1
                                        ;     Child Loop BB3_10 Depth 2
	s_delay_alu instid0(VALU_DEP_2)
	v_mov_b64_e32 v[6:7], v[4:5]
	v_mov_b64_e32 v[8:9], v[2:3]
	s_and_not1_b32 vcc_lo, exec_lo, s16
	s_mov_b64 s[10:11], s[0:1]
	s_cbranch_vccnz .LBB3_8
.LBB3_10:                               ;   Parent Loop BB3_9 Depth=1
                                        ; =>  This Inner Loop Header: Depth=2
	global_load_b64 v[10:11], v[6:7], off
	s_wait_xcnt 0x0
	v_add_nc_u64_e32 v[6:7], s[14:15], v[6:7]
	s_add_nc_u64 s[10:11], s[10:11], -1
	s_delay_alu instid0(SALU_CYCLE_1)
	s_cmp_eq_u64 s[10:11], 0
	s_wait_loadcnt 0x0
	global_store_b64 v[8:9], v[10:11], off
	s_wait_xcnt 0x0
	v_add_nc_u64_e32 v[8:9], s[6:7], v[8:9]
	s_cbranch_scc0 .LBB3_10
	s_branch .LBB3_8
.LBB3_11:
	s_endpgm
	.section	.rodata,"a",@progbits
	.p2align	6, 0x0
	.amdhsa_kernel _ZN9rocsolver6v33100L17rf_scatter_kernelIdEEviiPKiPT_iS5_
		.amdhsa_group_segment_fixed_size 0
		.amdhsa_private_segment_fixed_size 0
		.amdhsa_kernarg_size 296
		.amdhsa_user_sgpr_count 2
		.amdhsa_user_sgpr_dispatch_ptr 0
		.amdhsa_user_sgpr_queue_ptr 0
		.amdhsa_user_sgpr_kernarg_segment_ptr 1
		.amdhsa_user_sgpr_dispatch_id 0
		.amdhsa_user_sgpr_kernarg_preload_length 0
		.amdhsa_user_sgpr_kernarg_preload_offset 0
		.amdhsa_user_sgpr_private_segment_size 0
		.amdhsa_wavefront_size32 1
		.amdhsa_uses_dynamic_stack 0
		.amdhsa_enable_private_segment 0
		.amdhsa_system_sgpr_workgroup_id_x 1
		.amdhsa_system_sgpr_workgroup_id_y 0
		.amdhsa_system_sgpr_workgroup_id_z 0
		.amdhsa_system_sgpr_workgroup_info 0
		.amdhsa_system_vgpr_workitem_id 0
		.amdhsa_next_free_vgpr 14
		.amdhsa_next_free_sgpr 28
		.amdhsa_named_barrier_count 0
		.amdhsa_reserve_vcc 1
		.amdhsa_float_round_mode_32 0
		.amdhsa_float_round_mode_16_64 0
		.amdhsa_float_denorm_mode_32 3
		.amdhsa_float_denorm_mode_16_64 3
		.amdhsa_fp16_overflow 0
		.amdhsa_memory_ordered 1
		.amdhsa_forward_progress 1
		.amdhsa_inst_pref_size 5
		.amdhsa_round_robin_scheduling 0
		.amdhsa_exception_fp_ieee_invalid_op 0
		.amdhsa_exception_fp_denorm_src 0
		.amdhsa_exception_fp_ieee_div_zero 0
		.amdhsa_exception_fp_ieee_overflow 0
		.amdhsa_exception_fp_ieee_underflow 0
		.amdhsa_exception_fp_ieee_inexact 0
		.amdhsa_exception_int_div_zero 0
	.end_amdhsa_kernel
	.section	.text._ZN9rocsolver6v33100L17rf_scatter_kernelIdEEviiPKiPT_iS5_,"axG",@progbits,_ZN9rocsolver6v33100L17rf_scatter_kernelIdEEviiPKiPT_iS5_,comdat
.Lfunc_end3:
	.size	_ZN9rocsolver6v33100L17rf_scatter_kernelIdEEviiPKiPT_iS5_, .Lfunc_end3-_ZN9rocsolver6v33100L17rf_scatter_kernelIdEEviiPKiPT_iS5_
                                        ; -- End function
	.set _ZN9rocsolver6v33100L17rf_scatter_kernelIdEEviiPKiPT_iS5_.num_vgpr, 14
	.set _ZN9rocsolver6v33100L17rf_scatter_kernelIdEEviiPKiPT_iS5_.num_agpr, 0
	.set _ZN9rocsolver6v33100L17rf_scatter_kernelIdEEviiPKiPT_iS5_.numbered_sgpr, 28
	.set _ZN9rocsolver6v33100L17rf_scatter_kernelIdEEviiPKiPT_iS5_.num_named_barrier, 0
	.set _ZN9rocsolver6v33100L17rf_scatter_kernelIdEEviiPKiPT_iS5_.private_seg_size, 0
	.set _ZN9rocsolver6v33100L17rf_scatter_kernelIdEEviiPKiPT_iS5_.uses_vcc, 1
	.set _ZN9rocsolver6v33100L17rf_scatter_kernelIdEEviiPKiPT_iS5_.uses_flat_scratch, 0
	.set _ZN9rocsolver6v33100L17rf_scatter_kernelIdEEviiPKiPT_iS5_.has_dyn_sized_stack, 0
	.set _ZN9rocsolver6v33100L17rf_scatter_kernelIdEEviiPKiPT_iS5_.has_recursion, 0
	.set _ZN9rocsolver6v33100L17rf_scatter_kernelIdEEviiPKiPT_iS5_.has_indirect_call, 0
	.section	.AMDGPU.csdata,"",@progbits
; Kernel info:
; codeLenInByte = 576
; TotalNumSgprs: 30
; NumVgprs: 14
; ScratchSize: 0
; MemoryBound: 0
; FloatMode: 240
; IeeeMode: 1
; LDSByteSize: 0 bytes/workgroup (compile time only)
; SGPRBlocks: 0
; VGPRBlocks: 0
; NumSGPRsForWavesPerEU: 30
; NumVGPRsForWavesPerEU: 14
; NamedBarCnt: 0
; Occupancy: 16
; WaveLimiterHint : 0
; COMPUTE_PGM_RSRC2:SCRATCH_EN: 0
; COMPUTE_PGM_RSRC2:USER_SGPR: 2
; COMPUTE_PGM_RSRC2:TRAP_HANDLER: 0
; COMPUTE_PGM_RSRC2:TGID_X_EN: 1
; COMPUTE_PGM_RSRC2:TGID_Y_EN: 0
; COMPUTE_PGM_RSRC2:TGID_Z_EN: 0
; COMPUTE_PGM_RSRC2:TIDIG_COMP_CNT: 0
	.section	.AMDGPU.gpr_maximums,"",@progbits
	.set amdgpu.max_num_vgpr, 0
	.set amdgpu.max_num_agpr, 0
	.set amdgpu.max_num_sgpr, 0
	.section	.AMDGPU.csdata,"",@progbits
	.type	__hip_cuid_854dd74f1ede9e66,@object ; @__hip_cuid_854dd74f1ede9e66
	.section	.bss,"aw",@nobits
	.globl	__hip_cuid_854dd74f1ede9e66
__hip_cuid_854dd74f1ede9e66:
	.byte	0                               ; 0x0
	.size	__hip_cuid_854dd74f1ede9e66, 1

	.ident	"AMD clang version 22.0.0git (https://github.com/RadeonOpenCompute/llvm-project roc-7.2.4 26084 f58b06dce1f9c15707c5f808fd002e18c2accf7e)"
	.section	".note.GNU-stack","",@progbits
	.addrsig
	.addrsig_sym __hip_cuid_854dd74f1ede9e66
	.amdgpu_metadata
---
amdhsa.kernels:
  - .args:
      - .offset:         0
        .size:           4
        .value_kind:     by_value
      - .offset:         4
        .size:           4
        .value_kind:     by_value
      - .address_space:  global
        .offset:         8
        .size:           8
        .value_kind:     global_buffer
      - .address_space:  global
        .offset:         16
        .size:           8
        .value_kind:     global_buffer
      - .offset:         24
        .size:           4
        .value_kind:     by_value
      - .address_space:  global
        .offset:         32
        .size:           8
        .value_kind:     global_buffer
      - .offset:         40
        .size:           4
        .value_kind:     hidden_block_count_x
      - .offset:         44
        .size:           4
        .value_kind:     hidden_block_count_y
      - .offset:         48
        .size:           4
        .value_kind:     hidden_block_count_z
      - .offset:         52
        .size:           2
        .value_kind:     hidden_group_size_x
      - .offset:         54
        .size:           2
        .value_kind:     hidden_group_size_y
      - .offset:         56
        .size:           2
        .value_kind:     hidden_group_size_z
      - .offset:         58
        .size:           2
        .value_kind:     hidden_remainder_x
      - .offset:         60
        .size:           2
        .value_kind:     hidden_remainder_y
      - .offset:         62
        .size:           2
        .value_kind:     hidden_remainder_z
      - .offset:         80
        .size:           8
        .value_kind:     hidden_global_offset_x
      - .offset:         88
        .size:           8
        .value_kind:     hidden_global_offset_y
      - .offset:         96
        .size:           8
        .value_kind:     hidden_global_offset_z
      - .offset:         104
        .size:           2
        .value_kind:     hidden_grid_dims
    .group_segment_fixed_size: 0
    .kernarg_segment_align: 8
    .kernarg_segment_size: 296
    .language:       OpenCL C
    .language_version:
      - 2
      - 0
    .max_flat_workgroup_size: 1024
    .name:           _ZN9rocsolver6v33100L16rf_gather_kernelIfEEviiPKiPT_iS5_
    .private_segment_fixed_size: 0
    .sgpr_count:     30
    .sgpr_spill_count: 0
    .symbol:         _ZN9rocsolver6v33100L16rf_gather_kernelIfEEviiPKiPT_iS5_.kd
    .uniform_work_group_size: 1
    .uses_dynamic_stack: false
    .vgpr_count:     12
    .vgpr_spill_count: 0
    .wavefront_size: 32
  - .args:
      - .offset:         0
        .size:           4
        .value_kind:     by_value
      - .offset:         4
        .size:           4
        .value_kind:     by_value
      - .address_space:  global
        .offset:         8
        .size:           8
        .value_kind:     global_buffer
      - .address_space:  global
        .offset:         16
        .size:           8
        .value_kind:     global_buffer
      - .offset:         24
        .size:           4
        .value_kind:     by_value
      - .address_space:  global
        .offset:         32
        .size:           8
        .value_kind:     global_buffer
      - .offset:         40
        .size:           4
        .value_kind:     hidden_block_count_x
      - .offset:         44
        .size:           4
        .value_kind:     hidden_block_count_y
      - .offset:         48
        .size:           4
        .value_kind:     hidden_block_count_z
      - .offset:         52
        .size:           2
        .value_kind:     hidden_group_size_x
      - .offset:         54
        .size:           2
        .value_kind:     hidden_group_size_y
      - .offset:         56
        .size:           2
        .value_kind:     hidden_group_size_z
      - .offset:         58
        .size:           2
        .value_kind:     hidden_remainder_x
      - .offset:         60
        .size:           2
        .value_kind:     hidden_remainder_y
      - .offset:         62
        .size:           2
        .value_kind:     hidden_remainder_z
      - .offset:         80
        .size:           8
        .value_kind:     hidden_global_offset_x
      - .offset:         88
        .size:           8
        .value_kind:     hidden_global_offset_y
      - .offset:         96
        .size:           8
        .value_kind:     hidden_global_offset_z
      - .offset:         104
        .size:           2
        .value_kind:     hidden_grid_dims
    .group_segment_fixed_size: 0
    .kernarg_segment_align: 8
    .kernarg_segment_size: 296
    .language:       OpenCL C
    .language_version:
      - 2
      - 0
    .max_flat_workgroup_size: 1024
    .name:           _ZN9rocsolver6v33100L17rf_scatter_kernelIfEEviiPKiPT_iS5_
    .private_segment_fixed_size: 0
    .sgpr_count:     30
    .sgpr_spill_count: 0
    .symbol:         _ZN9rocsolver6v33100L17rf_scatter_kernelIfEEviiPKiPT_iS5_.kd
    .uniform_work_group_size: 1
    .uses_dynamic_stack: false
    .vgpr_count:     12
    .vgpr_spill_count: 0
    .wavefront_size: 32
  - .args:
      - .offset:         0
        .size:           4
        .value_kind:     by_value
      - .offset:         4
        .size:           4
        .value_kind:     by_value
      - .address_space:  global
        .offset:         8
        .size:           8
        .value_kind:     global_buffer
      - .address_space:  global
        .offset:         16
        .size:           8
        .value_kind:     global_buffer
      - .offset:         24
        .size:           4
        .value_kind:     by_value
      - .address_space:  global
        .offset:         32
        .size:           8
        .value_kind:     global_buffer
      - .offset:         40
        .size:           4
        .value_kind:     hidden_block_count_x
      - .offset:         44
        .size:           4
        .value_kind:     hidden_block_count_y
      - .offset:         48
        .size:           4
        .value_kind:     hidden_block_count_z
      - .offset:         52
        .size:           2
        .value_kind:     hidden_group_size_x
      - .offset:         54
        .size:           2
        .value_kind:     hidden_group_size_y
      - .offset:         56
        .size:           2
        .value_kind:     hidden_group_size_z
      - .offset:         58
        .size:           2
        .value_kind:     hidden_remainder_x
      - .offset:         60
        .size:           2
        .value_kind:     hidden_remainder_y
      - .offset:         62
        .size:           2
        .value_kind:     hidden_remainder_z
      - .offset:         80
        .size:           8
        .value_kind:     hidden_global_offset_x
      - .offset:         88
        .size:           8
        .value_kind:     hidden_global_offset_y
      - .offset:         96
        .size:           8
        .value_kind:     hidden_global_offset_z
      - .offset:         104
        .size:           2
        .value_kind:     hidden_grid_dims
    .group_segment_fixed_size: 0
    .kernarg_segment_align: 8
    .kernarg_segment_size: 296
    .language:       OpenCL C
    .language_version:
      - 2
      - 0
    .max_flat_workgroup_size: 1024
    .name:           _ZN9rocsolver6v33100L16rf_gather_kernelIdEEviiPKiPT_iS5_
    .private_segment_fixed_size: 0
    .sgpr_count:     30
    .sgpr_spill_count: 0
    .symbol:         _ZN9rocsolver6v33100L16rf_gather_kernelIdEEviiPKiPT_iS5_.kd
    .uniform_work_group_size: 1
    .uses_dynamic_stack: false
    .vgpr_count:     14
    .vgpr_spill_count: 0
    .wavefront_size: 32
  - .args:
      - .offset:         0
        .size:           4
        .value_kind:     by_value
      - .offset:         4
        .size:           4
        .value_kind:     by_value
      - .address_space:  global
        .offset:         8
        .size:           8
        .value_kind:     global_buffer
      - .address_space:  global
        .offset:         16
        .size:           8
        .value_kind:     global_buffer
      - .offset:         24
        .size:           4
        .value_kind:     by_value
      - .address_space:  global
        .offset:         32
        .size:           8
        .value_kind:     global_buffer
      - .offset:         40
        .size:           4
        .value_kind:     hidden_block_count_x
      - .offset:         44
        .size:           4
        .value_kind:     hidden_block_count_y
      - .offset:         48
        .size:           4
        .value_kind:     hidden_block_count_z
      - .offset:         52
        .size:           2
        .value_kind:     hidden_group_size_x
      - .offset:         54
        .size:           2
        .value_kind:     hidden_group_size_y
      - .offset:         56
        .size:           2
        .value_kind:     hidden_group_size_z
      - .offset:         58
        .size:           2
        .value_kind:     hidden_remainder_x
      - .offset:         60
        .size:           2
        .value_kind:     hidden_remainder_y
      - .offset:         62
        .size:           2
        .value_kind:     hidden_remainder_z
      - .offset:         80
        .size:           8
        .value_kind:     hidden_global_offset_x
      - .offset:         88
        .size:           8
        .value_kind:     hidden_global_offset_y
      - .offset:         96
        .size:           8
        .value_kind:     hidden_global_offset_z
      - .offset:         104
        .size:           2
        .value_kind:     hidden_grid_dims
    .group_segment_fixed_size: 0
    .kernarg_segment_align: 8
    .kernarg_segment_size: 296
    .language:       OpenCL C
    .language_version:
      - 2
      - 0
    .max_flat_workgroup_size: 1024
    .name:           _ZN9rocsolver6v33100L17rf_scatter_kernelIdEEviiPKiPT_iS5_
    .private_segment_fixed_size: 0
    .sgpr_count:     30
    .sgpr_spill_count: 0
    .symbol:         _ZN9rocsolver6v33100L17rf_scatter_kernelIdEEviiPKiPT_iS5_.kd
    .uniform_work_group_size: 1
    .uses_dynamic_stack: false
    .vgpr_count:     14
    .vgpr_spill_count: 0
    .wavefront_size: 32
amdhsa.target:   amdgcn-amd-amdhsa--gfx1250
amdhsa.version:
  - 1
  - 2
...

	.end_amdgpu_metadata
